;; amdgpu-corpus repo=ROCm/rocFFT kind=compiled arch=gfx1030 opt=O3
	.text
	.amdgcn_target "amdgcn-amd-amdhsa--gfx1030"
	.amdhsa_code_object_version 6
	.protected	fft_rtc_fwd_len297_factors_9_3_11_wgs_231_tpt_33_halfLds_dp_ip_CI_unitstride_sbrr_dirReg ; -- Begin function fft_rtc_fwd_len297_factors_9_3_11_wgs_231_tpt_33_halfLds_dp_ip_CI_unitstride_sbrr_dirReg
	.globl	fft_rtc_fwd_len297_factors_9_3_11_wgs_231_tpt_33_halfLds_dp_ip_CI_unitstride_sbrr_dirReg
	.p2align	8
	.type	fft_rtc_fwd_len297_factors_9_3_11_wgs_231_tpt_33_halfLds_dp_ip_CI_unitstride_sbrr_dirReg,@function
fft_rtc_fwd_len297_factors_9_3_11_wgs_231_tpt_33_halfLds_dp_ip_CI_unitstride_sbrr_dirReg: ; @fft_rtc_fwd_len297_factors_9_3_11_wgs_231_tpt_33_halfLds_dp_ip_CI_unitstride_sbrr_dirReg
; %bb.0:
	s_load_dwordx4 s[8:11], s[4:5], 0x0
	v_mul_u32_u24_e32 v1, 0x7c2, v0
	s_clause 0x1
	s_load_dwordx2 s[2:3], s[4:5], 0x50
	s_load_dwordx2 s[12:13], s[4:5], 0x18
	v_lshrrev_b32_e32 v2, 16, v1
	v_mov_b32_e32 v1, 0
	v_mad_u64_u32 v[36:37], null, s6, 7, v[2:3]
	v_mov_b32_e32 v37, v1
	v_mov_b32_e32 v3, 0
	;; [unrolled: 1-line block ×4, first 2 shown]
	s_waitcnt lgkmcnt(0)
	v_cmp_lt_u64_e64 s0, s[10:11], 2
	v_mov_b32_e32 v8, v37
	s_and_b32 vcc_lo, exec_lo, s0
	s_cbranch_vccnz .LBB0_8
; %bb.1:
	s_load_dwordx2 s[0:1], s[4:5], 0x10
	v_mov_b32_e32 v3, 0
	v_mov_b32_e32 v5, v36
	s_add_u32 s6, s12, 8
	v_mov_b32_e32 v4, 0
	v_mov_b32_e32 v6, v37
	s_addc_u32 s7, s13, 0
	s_mov_b64 s[16:17], 1
	s_waitcnt lgkmcnt(0)
	s_add_u32 s14, s0, 8
	s_addc_u32 s15, s1, 0
.LBB0_2:                                ; =>This Inner Loop Header: Depth=1
	s_load_dwordx2 s[18:19], s[14:15], 0x0
                                        ; implicit-def: $vgpr7_vgpr8
	s_mov_b32 s0, exec_lo
	s_waitcnt lgkmcnt(0)
	v_or_b32_e32 v2, s19, v6
	v_cmpx_ne_u64_e32 0, v[1:2]
	s_xor_b32 s1, exec_lo, s0
	s_cbranch_execz .LBB0_4
; %bb.3:                                ;   in Loop: Header=BB0_2 Depth=1
	v_cvt_f32_u32_e32 v2, s18
	v_cvt_f32_u32_e32 v7, s19
	s_sub_u32 s0, 0, s18
	s_subb_u32 s20, 0, s19
	v_fmac_f32_e32 v2, 0x4f800000, v7
	v_rcp_f32_e32 v2, v2
	v_mul_f32_e32 v2, 0x5f7ffffc, v2
	v_mul_f32_e32 v7, 0x2f800000, v2
	v_trunc_f32_e32 v7, v7
	v_fmac_f32_e32 v2, 0xcf800000, v7
	v_cvt_u32_f32_e32 v7, v7
	v_cvt_u32_f32_e32 v2, v2
	v_mul_lo_u32 v8, s0, v7
	v_mul_hi_u32 v9, s0, v2
	v_mul_lo_u32 v10, s20, v2
	v_add_nc_u32_e32 v8, v9, v8
	v_mul_lo_u32 v9, s0, v2
	v_add_nc_u32_e32 v8, v8, v10
	v_mul_hi_u32 v10, v2, v9
	v_mul_lo_u32 v11, v2, v8
	v_mul_hi_u32 v12, v2, v8
	v_mul_hi_u32 v13, v7, v9
	v_mul_lo_u32 v9, v7, v9
	v_mul_hi_u32 v14, v7, v8
	v_mul_lo_u32 v8, v7, v8
	v_add_co_u32 v10, vcc_lo, v10, v11
	v_add_co_ci_u32_e32 v11, vcc_lo, 0, v12, vcc_lo
	v_add_co_u32 v9, vcc_lo, v10, v9
	v_add_co_ci_u32_e32 v9, vcc_lo, v11, v13, vcc_lo
	v_add_co_ci_u32_e32 v10, vcc_lo, 0, v14, vcc_lo
	v_add_co_u32 v8, vcc_lo, v9, v8
	v_add_co_ci_u32_e32 v9, vcc_lo, 0, v10, vcc_lo
	v_add_co_u32 v2, vcc_lo, v2, v8
	v_add_co_ci_u32_e32 v7, vcc_lo, v7, v9, vcc_lo
	v_mul_hi_u32 v8, s0, v2
	v_mul_lo_u32 v10, s20, v2
	v_mul_lo_u32 v9, s0, v7
	v_add_nc_u32_e32 v8, v8, v9
	v_mul_lo_u32 v9, s0, v2
	v_add_nc_u32_e32 v8, v8, v10
	v_mul_hi_u32 v10, v2, v9
	v_mul_lo_u32 v11, v2, v8
	v_mul_hi_u32 v12, v2, v8
	v_mul_hi_u32 v13, v7, v9
	v_mul_lo_u32 v9, v7, v9
	v_mul_hi_u32 v14, v7, v8
	v_mul_lo_u32 v8, v7, v8
	v_add_co_u32 v10, vcc_lo, v10, v11
	v_add_co_ci_u32_e32 v11, vcc_lo, 0, v12, vcc_lo
	v_add_co_u32 v9, vcc_lo, v10, v9
	v_add_co_ci_u32_e32 v9, vcc_lo, v11, v13, vcc_lo
	v_add_co_ci_u32_e32 v10, vcc_lo, 0, v14, vcc_lo
	v_add_co_u32 v8, vcc_lo, v9, v8
	v_add_co_ci_u32_e32 v9, vcc_lo, 0, v10, vcc_lo
	v_add_co_u32 v2, vcc_lo, v2, v8
	v_add_co_ci_u32_e32 v11, vcc_lo, v7, v9, vcc_lo
	v_mul_hi_u32 v13, v5, v2
	v_mad_u64_u32 v[9:10], null, v6, v2, 0
	v_mad_u64_u32 v[7:8], null, v5, v11, 0
	v_mad_u64_u32 v[11:12], null, v6, v11, 0
	v_add_co_u32 v2, vcc_lo, v13, v7
	v_add_co_ci_u32_e32 v7, vcc_lo, 0, v8, vcc_lo
	v_add_co_u32 v2, vcc_lo, v2, v9
	v_add_co_ci_u32_e32 v2, vcc_lo, v7, v10, vcc_lo
	v_add_co_ci_u32_e32 v7, vcc_lo, 0, v12, vcc_lo
	v_add_co_u32 v2, vcc_lo, v2, v11
	v_add_co_ci_u32_e32 v9, vcc_lo, 0, v7, vcc_lo
	v_mul_lo_u32 v10, s19, v2
	v_mad_u64_u32 v[7:8], null, s18, v2, 0
	v_mul_lo_u32 v11, s18, v9
	v_sub_co_u32 v7, vcc_lo, v5, v7
	v_add3_u32 v8, v8, v11, v10
	v_sub_nc_u32_e32 v10, v6, v8
	v_subrev_co_ci_u32_e64 v10, s0, s19, v10, vcc_lo
	v_add_co_u32 v11, s0, v2, 2
	v_add_co_ci_u32_e64 v12, s0, 0, v9, s0
	v_sub_co_u32 v13, s0, v7, s18
	v_sub_co_ci_u32_e32 v8, vcc_lo, v6, v8, vcc_lo
	v_subrev_co_ci_u32_e64 v10, s0, 0, v10, s0
	v_cmp_le_u32_e32 vcc_lo, s18, v13
	v_cmp_eq_u32_e64 s0, s19, v8
	v_cndmask_b32_e64 v13, 0, -1, vcc_lo
	v_cmp_le_u32_e32 vcc_lo, s19, v10
	v_cndmask_b32_e64 v14, 0, -1, vcc_lo
	v_cmp_le_u32_e32 vcc_lo, s18, v7
	;; [unrolled: 2-line block ×3, first 2 shown]
	v_cndmask_b32_e64 v15, 0, -1, vcc_lo
	v_cmp_eq_u32_e32 vcc_lo, s19, v10
	v_cndmask_b32_e64 v7, v15, v7, s0
	v_cndmask_b32_e32 v10, v14, v13, vcc_lo
	v_add_co_u32 v13, vcc_lo, v2, 1
	v_add_co_ci_u32_e32 v14, vcc_lo, 0, v9, vcc_lo
	v_cmp_ne_u32_e32 vcc_lo, 0, v10
	v_cndmask_b32_e32 v8, v14, v12, vcc_lo
	v_cndmask_b32_e32 v10, v13, v11, vcc_lo
	v_cmp_ne_u32_e32 vcc_lo, 0, v7
	v_cndmask_b32_e32 v8, v9, v8, vcc_lo
	v_cndmask_b32_e32 v7, v2, v10, vcc_lo
.LBB0_4:                                ;   in Loop: Header=BB0_2 Depth=1
	s_andn2_saveexec_b32 s0, s1
	s_cbranch_execz .LBB0_6
; %bb.5:                                ;   in Loop: Header=BB0_2 Depth=1
	v_cvt_f32_u32_e32 v2, s18
	s_sub_i32 s1, 0, s18
	v_rcp_iflag_f32_e32 v2, v2
	v_mul_f32_e32 v2, 0x4f7ffffe, v2
	v_cvt_u32_f32_e32 v2, v2
	v_mul_lo_u32 v7, s1, v2
	v_mul_hi_u32 v7, v2, v7
	v_add_nc_u32_e32 v2, v2, v7
	v_mul_hi_u32 v2, v5, v2
	v_mul_lo_u32 v7, v2, s18
	v_add_nc_u32_e32 v8, 1, v2
	v_sub_nc_u32_e32 v7, v5, v7
	v_subrev_nc_u32_e32 v9, s18, v7
	v_cmp_le_u32_e32 vcc_lo, s18, v7
	v_cndmask_b32_e32 v7, v7, v9, vcc_lo
	v_cndmask_b32_e32 v2, v2, v8, vcc_lo
	v_cmp_le_u32_e32 vcc_lo, s18, v7
	v_add_nc_u32_e32 v8, 1, v2
	v_cndmask_b32_e32 v7, v2, v8, vcc_lo
	v_mov_b32_e32 v8, v1
.LBB0_6:                                ;   in Loop: Header=BB0_2 Depth=1
	s_or_b32 exec_lo, exec_lo, s0
	s_load_dwordx2 s[0:1], s[6:7], 0x0
	v_mul_lo_u32 v2, v8, s18
	v_mul_lo_u32 v11, v7, s19
	v_mad_u64_u32 v[9:10], null, v7, s18, 0
	s_add_u32 s16, s16, 1
	s_addc_u32 s17, s17, 0
	s_add_u32 s6, s6, 8
	s_addc_u32 s7, s7, 0
	;; [unrolled: 2-line block ×3, first 2 shown]
	v_add3_u32 v2, v10, v11, v2
	v_sub_co_u32 v5, vcc_lo, v5, v9
	v_sub_co_ci_u32_e32 v2, vcc_lo, v6, v2, vcc_lo
	s_waitcnt lgkmcnt(0)
	v_mul_lo_u32 v6, s1, v5
	v_mul_lo_u32 v2, s0, v2
	v_mad_u64_u32 v[3:4], null, s0, v5, v[3:4]
	v_cmp_ge_u64_e64 s0, s[16:17], s[10:11]
	s_and_b32 vcc_lo, exec_lo, s0
	v_add3_u32 v4, v6, v4, v2
	s_cbranch_vccnz .LBB0_8
; %bb.7:                                ;   in Loop: Header=BB0_2 Depth=1
	v_mov_b32_e32 v5, v7
	v_mov_b32_e32 v6, v8
	s_branch .LBB0_2
.LBB0_8:
	s_lshl_b64 s[0:1], s[10:11], 3
                                        ; implicit-def: $vgpr34_vgpr35
                                        ; implicit-def: $vgpr30_vgpr31
                                        ; implicit-def: $vgpr26_vgpr27
                                        ; implicit-def: $vgpr10_vgpr11
                                        ; implicit-def: $vgpr18_vgpr19
                                        ; implicit-def: $vgpr14_vgpr15
                                        ; implicit-def: $vgpr22_vgpr23
	s_add_u32 s0, s12, s0
	s_addc_u32 s1, s13, s1
	s_load_dwordx2 s[0:1], s[0:1], 0x0
	s_load_dwordx2 s[4:5], s[4:5], 0x20
	s_waitcnt lgkmcnt(0)
	v_mul_lo_u32 v5, s0, v8
	v_mul_lo_u32 v6, s1, v7
	v_mad_u64_u32 v[1:2], null, s0, v7, v[3:4]
	v_mul_hi_u32 v3, 0x7c1f07d, v0
	v_cmp_gt_u64_e32 vcc_lo, s[4:5], v[7:8]
	v_add3_u32 v2, v6, v2, v5
                                        ; implicit-def: $vgpr6_vgpr7
	v_mul_u32_u24_e32 v3, 33, v3
	v_lshlrev_b64 v[42:43], 4, v[1:2]
	v_sub_nc_u32_e32 v40, v0, v3
                                        ; implicit-def: $vgpr2_vgpr3
	s_and_saveexec_b32 s1, vcc_lo
	s_cbranch_execz .LBB0_10
; %bb.9:
	v_mov_b32_e32 v41, 0
	v_add_co_u32 v2, s0, s2, v42
	v_add_co_ci_u32_e64 v3, s0, s3, v43, s0
	v_lshlrev_b64 v[0:1], 4, v[40:41]
	v_add_co_u32 v4, s0, v2, v0
	v_add_co_ci_u32_e64 v5, s0, v3, v1, s0
	s_clause 0x3
	global_load_dwordx4 v[0:3], v[4:5], off
	global_load_dwordx4 v[20:23], v[4:5], off offset:528
	global_load_dwordx4 v[12:15], v[4:5], off offset:1056
	;; [unrolled: 1-line block ×3, first 2 shown]
	v_add_co_u32 v28, s0, 0x800, v4
	v_add_co_ci_u32_e64 v29, s0, 0, v5, s0
	v_add_co_u32 v32, s0, 0x1000, v4
	v_add_co_ci_u32_e64 v33, s0, 0, v5, s0
	s_clause 0x4
	global_load_dwordx4 v[8:11], v[28:29], off offset:64
	global_load_dwordx4 v[4:7], v[28:29], off offset:592
	;; [unrolled: 1-line block ×5, first 2 shown]
.LBB0_10:
	s_or_b32 exec_lo, exec_lo, s1
	s_waitcnt vmcnt(0)
	v_add_f64 v[37:38], v[32:33], v[20:21]
	v_add_f64 v[44:45], v[4:5], v[8:9]
	;; [unrolled: 1-line block ×3, first 2 shown]
	v_add_f64 v[20:21], v[20:21], -v[32:33]
	v_add_f64 v[32:33], v[22:23], -v[34:35]
	;; [unrolled: 1-line block ×3, first 2 shown]
	v_add_f64 v[22:23], v[34:35], v[22:23]
	v_add_f64 v[34:35], v[30:31], v[14:15]
	v_add_f64 v[14:15], v[14:15], -v[30:31]
	v_add_f64 v[30:31], v[6:7], v[10:11]
	v_add_f64 v[52:53], v[8:9], -v[4:5]
	v_mul_hi_u32 v39, 0x24924925, v36
	v_add_f64 v[66:67], v[26:27], v[18:19]
	v_add_f64 v[18:19], v[18:19], -v[26:27]
	s_mov_b32 s0, 0xa2cf5039
	s_mov_b32 s12, 0x8c811c17
	;; [unrolled: 1-line block ×5, first 2 shown]
	v_sub_nc_u32_e32 v26, v36, v39
	s_mov_b32 s13, 0x3fef838b
	v_add_f64 v[12:13], v[12:13], -v[28:29]
	v_fma_f64 v[54:55], v[37:38], s[0:1], v[0:1]
	v_fma_f64 v[56:57], v[44:45], s[0:1], v[0:1]
	;; [unrolled: 1-line block ×3, first 2 shown]
	v_mul_f64 v[60:61], v[20:21], s[10:11]
	v_mul_f64 v[62:63], v[32:33], s[10:11]
	;; [unrolled: 1-line block ×3, first 2 shown]
	s_mov_b32 s11, 0xbfe491b7
	v_lshrrev_b32_e32 v41, 1, v26
	v_fma_f64 v[28:29], v[22:23], s[0:1], v[2:3]
	v_fma_f64 v[70:71], v[30:31], s[0:1], v[2:3]
	v_mul_f64 v[26:27], v[52:53], s[12:13]
	v_fma_f64 v[72:73], v[34:35], s[0:1], v[2:3]
	v_mul_f64 v[68:69], v[48:49], s[10:11]
	v_add_f64 v[50:51], v[24:25], v[16:17]
	v_add_f64 v[16:17], v[16:17], -v[24:25]
	v_add_f64 v[24:25], v[46:47], v[37:38]
	v_mul_f64 v[74:75], v[52:53], s[10:11]
	s_mov_b32 s14, 0x7e0b738b
	s_mov_b32 s15, 0x3fc63a1a
	v_add_f64 v[76:77], v[34:35], v[22:23]
	s_mov_b32 s5, 0x3febb67a
	s_mov_b32 s4, 0xe8584cab
	v_fma_f64 v[54:55], v[46:47], s[14:15], v[54:55]
	v_fma_f64 v[56:57], v[37:38], s[14:15], v[56:57]
	;; [unrolled: 1-line block ×5, first 2 shown]
	v_fma_f64 v[64:65], v[14:15], s[10:11], -v[64:65]
	s_mov_b32 s7, 0xbfebb67a
	s_mov_b32 s6, s4
	v_fma_f64 v[28:29], v[34:35], s[14:15], v[28:29]
	v_fma_f64 v[70:71], v[22:23], s[14:15], v[70:71]
	v_fma_f64 v[26:27], v[12:13], s[10:11], -v[26:27]
	v_fma_f64 v[72:73], v[30:31], s[14:15], v[72:73]
	v_fma_f64 v[68:69], v[32:33], s[12:13], v[68:69]
	v_add_f64 v[78:79], v[50:51], v[0:1]
	v_add_f64 v[80:81], v[48:49], v[32:33]
	;; [unrolled: 1-line block ×3, first 2 shown]
	v_fma_f64 v[74:75], v[20:21], s[12:13], v[74:75]
	v_add_f64 v[24:25], v[44:45], v[24:25]
	s_mov_b32 s0, 0x42522d1b
	v_add_f64 v[84:85], v[66:67], v[76:77]
	v_add_f64 v[76:77], v[30:31], v[76:77]
	s_mov_b32 s10, 0x748a0bf8
	v_fma_f64 v[54:55], v[50:51], -0.5, v[54:55]
	v_fma_f64 v[56:57], v[50:51], -0.5, v[56:57]
	;; [unrolled: 1-line block ×3, first 2 shown]
	v_fma_f64 v[60:61], v[16:17], s[4:5], v[60:61]
	v_fma_f64 v[58:59], v[18:19], s[4:5], v[62:63]
	;; [unrolled: 1-line block ×3, first 2 shown]
	v_add_f64 v[62:63], v[66:67], v[2:3]
	s_mov_b32 s1, 0xbfee11f6
	v_fma_f64 v[28:29], v[66:67], -0.5, v[28:29]
	v_fma_f64 v[70:71], v[66:67], -0.5, v[70:71]
	v_fma_f64 v[26:27], v[16:17], s[4:5], v[26:27]
	v_fma_f64 v[66:67], v[66:67], -0.5, v[72:73]
	v_fma_f64 v[18:19], v[18:19], s[6:7], v[68:69]
	v_add_f64 v[68:69], v[52:53], v[20:21]
	s_mov_b32 s11, 0x3fd5e3a8
	v_add_f64 v[8:9], v[8:9], v[82:83]
	v_fma_f64 v[16:17], v[16:17], s[6:7], v[74:75]
	v_add_f64 v[80:81], v[80:81], -v[14:15]
	v_fma_f64 v[24:25], v[24:25], -0.5, v[78:79]
	v_add_nc_u32_e32 v39, v41, v39
	v_add_f64 v[10:11], v[10:11], v[84:85]
	v_fma_f64 v[44:45], v[44:45], s[0:1], v[54:55]
	v_fma_f64 v[46:47], v[46:47], s[0:1], v[56:57]
	;; [unrolled: 1-line block ×3, first 2 shown]
	v_lshrrev_b32_e32 v39, 2, v39
	v_fma_f64 v[48:49], v[48:49], s[10:11], v[58:59]
	v_fma_f64 v[32:33], v[32:33], s[10:11], v[64:65]
	v_fma_f64 v[50:51], v[76:77], -0.5, v[62:63]
	v_fma_f64 v[52:53], v[52:53], s[10:11], v[60:61]
	v_fma_f64 v[28:29], v[30:31], s[0:1], v[28:29]
	;; [unrolled: 1-line block ×6, first 2 shown]
	v_add_f64 v[18:19], v[68:69], -v[12:13]
	v_mul_lo_u32 v39, v39, 7
	v_add_f64 v[4:5], v[4:5], v[8:9]
	v_fma_f64 v[8:9], v[12:13], s[10:11], v[16:17]
	v_mul_f64 v[54:55], v[80:81], s[4:5]
	v_fma_f64 v[12:13], v[80:81], s[4:5], v[24:25]
	v_and_b32_e32 v17, 0xff, v40
	v_add_f64 v[6:7], v[6:7], v[10:11]
	v_cmp_gt_u32_e64 s0, 27, v40
	v_sub_nc_u32_e32 v36, v36, v39
	v_add_f64 v[26:27], v[48:49], v[44:45]
	v_add_f64 v[24:25], v[32:33], v[37:38]
	v_mul_u32_u24_e32 v16, 0x129, v36
	v_add_f64 v[28:29], v[28:29], -v[52:53]
	v_add_f64 v[22:23], v[22:23], -v[20:21]
	v_add_f64 v[34:35], v[14:15], v[46:47]
	v_lshlrev_b32_e32 v81, 3, v16
	v_mul_lo_u16 v16, v17, 57
	v_mul_f64 v[36:37], v[18:19], s[4:5]
	v_fma_f64 v[17:18], v[18:19], s[6:7], v[50:51]
	v_add_f64 v[0:1], v[0:1], v[4:5]
	v_add_f64 v[30:31], v[30:31], -v[8:9]
	v_add_nc_u32_e32 v38, 0, v81
	v_lshlrev_b32_e32 v19, 6, v40
	v_add_nc_u16 v46, v40, 33
	v_fma_f64 v[4:5], v[54:55], -2.0, v[12:13]
	v_lshrrev_b16 v82, 9, v16
	v_mad_u32_u24 v47, 0x48, v40, v38
	v_lshl_add_u32 v56, v40, 3, v38
	v_and_b32_e32 v39, 0xff, v46
	v_fma_f64 v[10:11], v[32:33], -2.0, v[24:25]
	v_fma_f64 v[32:33], v[48:49], -2.0, v[26:27]
	v_sub_nc_u32_e32 v41, v47, v19
	v_add_nc_u16 v48, v40, 0x42
	v_mul_lo_u16 v50, v39, 57
	v_add_f64 v[38:39], v[2:3], v[6:7]
	v_fma_f64 v[19:20], v[20:21], 2.0, v[22:23]
	v_fma_f64 v[14:15], v[14:15], -2.0, v[34:35]
	v_and_b32_e32 v49, 0xff, v48
	v_fma_f64 v[44:45], v[52:53], 2.0, v[28:29]
	v_lshrrev_b16 v83, 9, v50
	v_fma_f64 v[36:37], v[36:37], 2.0, v[17:18]
	ds_write2_b64 v47, v[0:1], v[26:27] offset1:1
	v_fma_f64 v[26:27], v[8:9], 2.0, v[30:31]
	v_mul_lo_u16 v21, v49, 57
	v_mul_lo_u16 v51, v82, 9
	v_add_nc_u32_e32 v16, 0x400, v41
	ds_write2_b64 v47, v[34:35], v[12:13] offset0:2 offset1:3
	ds_write2_b64 v47, v[24:25], v[10:11] offset0:4 offset1:5
	ds_write_b64 v47, v[32:33] offset:64
	ds_write2_b64 v47, v[4:5], v[14:15] offset0:6 offset1:7
	v_lshrrev_b16 v84, 9, v21
	s_waitcnt lgkmcnt(0)
	s_barrier
	buffer_gl0_inv
	ds_read_b64 v[54:55], v56
	ds_read2_b64 v[0:3], v41 offset0:99 offset1:132
	ds_read2_b64 v[4:7], v41 offset0:165 offset1:198
	ds_read2_b64 v[8:11], v41 offset0:33 offset1:66
	ds_read2_b64 v[12:15], v16 offset0:103 offset1:136
	s_waitcnt lgkmcnt(0)
	s_barrier
	buffer_gl0_inv
	ds_write2_b64 v47, v[30:31], v[17:18] offset0:2 offset1:3
	v_mul_lo_u16 v18, v83, 9
	ds_write2_b64 v47, v[22:23], v[19:20] offset0:4 offset1:5
	v_mul_lo_u16 v19, v84, 9
	v_sub_nc_u16 v85, v40, v51
	v_mov_b32_e32 v17, 5
	v_sub_nc_u16 v86, v46, v18
	ds_write2_b64 v47, v[38:39], v[28:29] offset1:1
	v_sub_nc_u16 v87, v48, v19
	ds_write2_b64 v47, v[36:37], v[26:27] offset0:6 offset1:7
	ds_write_b64 v47, v[44:45] offset:64
	v_lshlrev_b32_sdwa v21, v17, v85 dst_sel:DWORD dst_unused:UNUSED_PAD src0_sel:DWORD src1_sel:BYTE_0
	v_lshlrev_b32_sdwa v25, v17, v86 dst_sel:DWORD dst_unused:UNUSED_PAD src0_sel:DWORD src1_sel:BYTE_0
	s_waitcnt lgkmcnt(0)
	v_lshlrev_b32_sdwa v26, v17, v87 dst_sel:DWORD dst_unused:UNUSED_PAD src0_sel:DWORD src1_sel:BYTE_0
	s_barrier
	buffer_gl0_inv
	s_clause 0x5
	global_load_dwordx4 v[17:20], v21, s[8:9]
	global_load_dwordx4 v[21:24], v21, s[8:9] offset:16
	global_load_dwordx4 v[34:37], v25, s[8:9]
	global_load_dwordx4 v[44:47], v25, s[8:9] offset:16
	;; [unrolled: 2-line block ×3, first 2 shown]
	ds_read2_b64 v[61:64], v41 offset0:99 offset1:132
	ds_read2_b64 v[65:68], v41 offset0:165 offset1:198
	;; [unrolled: 1-line block ×3, first 2 shown]
	s_mov_b32 s4, 0xe8584caa
	s_mov_b32 s6, s4
	s_waitcnt vmcnt(5) lgkmcnt(2)
	v_mul_f64 v[25:26], v[61:62], v[19:20]
	s_waitcnt vmcnt(4) lgkmcnt(1)
	v_mul_f64 v[27:28], v[67:68], v[23:24]
	s_waitcnt vmcnt(3)
	v_mul_f64 v[29:30], v[63:64], v[36:37]
	s_waitcnt vmcnt(2) lgkmcnt(0)
	v_mul_f64 v[31:32], v[69:70], v[46:47]
	s_waitcnt vmcnt(1)
	v_mul_f64 v[48:49], v[65:66], v[52:53]
	s_waitcnt vmcnt(0)
	v_mul_f64 v[73:74], v[71:72], v[59:60]
	v_mul_f64 v[19:20], v[0:1], v[19:20]
	;; [unrolled: 1-line block ×7, first 2 shown]
	v_and_b32_e32 v23, 0xffff, v82
	v_fma_f64 v[36:37], v[0:1], v[17:18], -v[25:26]
	v_fma_f64 v[38:39], v[6:7], v[21:22], -v[27:28]
	;; [unrolled: 1-line block ×6, first 2 shown]
	v_fma_f64 v[46:47], v[61:62], v[17:18], v[19:20]
	v_fma_f64 v[48:49], v[63:64], v[34:35], v[75:76]
	;; [unrolled: 1-line block ×6, first 2 shown]
	v_mov_b32_e32 v59, 3
	v_and_b32_e32 v60, 0xffff, v83
	v_and_b32_e32 v61, 0xffff, v84
	v_add_f64 v[6:7], v[54:55], v[36:37]
	v_add_f64 v[0:1], v[36:37], v[38:39]
	;; [unrolled: 1-line block ×6, first 2 shown]
	v_add_f64 v[12:13], v[46:47], -v[26:27]
	v_add_f64 v[21:22], v[48:49], -v[34:35]
	v_add_f64 v[44:45], v[6:7], v[38:39]
	v_fma_f64 v[19:20], v[0:1], -0.5, v[54:55]
	v_add_f64 v[54:55], v[50:51], -v[52:53]
	v_fma_f64 v[8:9], v[2:3], -0.5, v[8:9]
	v_fma_f64 v[57:58], v[4:5], -0.5, v[10:11]
	v_add_f64 v[4:5], v[14:15], v[32:33]
	v_add_f64 v[10:11], v[17:18], v[30:31]
	v_mad_u32_u24 v17, 0xd8, v23, 0
	v_lshlrev_b32_sdwa v18, v59, v85 dst_sel:DWORD dst_unused:UNUSED_PAD src0_sel:DWORD src1_sel:BYTE_0
	v_fma_f64 v[0:1], v[12:13], s[4:5], v[19:20]
	v_fma_f64 v[2:3], v[12:13], s[6:7], v[19:20]
	;; [unrolled: 1-line block ×6, first 2 shown]
	ds_read_b64 v[54:55], v56
	ds_read2_b64 v[20:23], v41 offset0:33 offset1:66
	v_mad_u32_u24 v19, 0xd8, v60, 0
	v_mad_u32_u24 v57, 0xd8, v61, 0
	v_lshlrev_b32_sdwa v58, v59, v86 dst_sel:DWORD dst_unused:UNUSED_PAD src0_sel:DWORD src1_sel:BYTE_0
	v_lshlrev_b32_sdwa v60, v59, v87 dst_sel:DWORD dst_unused:UNUSED_PAD src0_sel:DWORD src1_sel:BYTE_0
	v_add3_u32 v59, v17, v18, v81
	s_waitcnt lgkmcnt(0)
	s_barrier
	v_add3_u32 v58, v19, v58, v81
	v_add3_u32 v57, v57, v60, v81
	buffer_gl0_inv
	ds_write2_b64 v59, v[44:45], v[0:1] offset1:9
	ds_write_b64 v59, v[2:3] offset:144
	ds_write2_b64 v58, v[4:5], v[6:7] offset1:9
	ds_write_b64 v58, v[8:9] offset:144
	;; [unrolled: 2-line block ×3, first 2 shown]
	s_waitcnt lgkmcnt(0)
	s_barrier
	buffer_gl0_inv
                                        ; implicit-def: $vgpr18_vgpr19
	s_and_saveexec_b32 s1, s0
	s_cbranch_execz .LBB0_12
; %bb.11:
	ds_read_b64 v[44:45], v56
	ds_read2_b64 v[0:3], v41 offset0:27 offset1:54
	ds_read2_b64 v[4:7], v41 offset0:81 offset1:108
	;; [unrolled: 1-line block ×5, first 2 shown]
.LBB0_12:
	s_or_b32 exec_lo, exec_lo, s1
	v_add_f64 v[60:61], v[46:47], v[26:27]
	v_add_f64 v[62:63], v[48:49], v[34:35]
	;; [unrolled: 1-line block ×4, first 2 shown]
	v_add_f64 v[36:37], v[36:37], -v[38:39]
	v_add_f64 v[38:39], v[20:21], v[48:49]
	v_add_f64 v[48:49], v[22:23], v[50:51]
	v_add_f64 v[32:33], v[28:29], -v[32:33]
	s_waitcnt lgkmcnt(0)
	s_barrier
	buffer_gl0_inv
	v_fma_f64 v[50:51], v[60:61], -0.5, v[54:55]
	v_fma_f64 v[54:55], v[62:63], -0.5, v[20:21]
	v_add_f64 v[60:61], v[24:25], -v[30:31]
	v_fma_f64 v[62:63], v[64:65], -0.5, v[22:23]
	v_add_f64 v[46:47], v[46:47], v[26:27]
	v_add_f64 v[28:29], v[38:39], v[34:35]
	;; [unrolled: 1-line block ×3, first 2 shown]
                                        ; implicit-def: $vgpr38_vgpr39
	v_fma_f64 v[20:21], v[36:37], s[6:7], v[50:51]
	v_fma_f64 v[22:23], v[36:37], s[4:5], v[50:51]
	;; [unrolled: 1-line block ×6, first 2 shown]
	ds_write2_b64 v59, v[46:47], v[20:21] offset1:9
	ds_write_b64 v59, v[22:23] offset:144
	ds_write2_b64 v58, v[28:29], v[30:31] offset1:9
	ds_write_b64 v58, v[24:25] offset:144
	;; [unrolled: 2-line block ×3, first 2 shown]
	s_waitcnt lgkmcnt(0)
	s_barrier
	buffer_gl0_inv
	s_and_saveexec_b32 s1, s0
	s_cbranch_execnz .LBB0_15
; %bb.13:
	s_or_b32 exec_lo, exec_lo, s1
	s_and_b32 s0, vcc_lo, s0
	s_and_saveexec_b32 s1, s0
	s_cbranch_execnz .LBB0_16
.LBB0_14:
	s_endpgm
.LBB0_15:
	v_add_nc_u32_e32 v36, 0x400, v41
	ds_read_b64 v[46:47], v56
	ds_read2_b64 v[20:23], v41 offset0:27 offset1:54
	ds_read2_b64 v[28:31], v41 offset0:81 offset1:108
	;; [unrolled: 1-line block ×5, first 2 shown]
	s_or_b32 exec_lo, exec_lo, s1
	s_and_b32 s0, vcc_lo, s0
	s_and_saveexec_b32 s1, s0
	s_cbranch_execz .LBB0_14
.LBB0_16:
	v_mul_u32_u24_e32 v41, 10, v40
	v_add_co_u32 v236, vcc_lo, s2, v42
	v_add_co_ci_u32_e32 v237, vcc_lo, s3, v43, vcc_lo
	v_lshlrev_b32_e32 v41, 4, v41
	s_mov_b32 s0, 0x9bcd5057
	s_mov_b32 s4, 0x8764f0ba
	;; [unrolled: 1-line block ×4, first 2 shown]
	s_clause 0x9
	global_load_dwordx4 v[48:51], v41, s[8:9] offset:352
	global_load_dwordx4 v[52:55], v41, s[8:9] offset:304
	;; [unrolled: 1-line block ×10, first 2 shown]
	v_mov_b32_e32 v41, 0
	s_mov_b32 s8, 0x7f775887
	s_mov_b32 s20, 0xbb3a28a1
	;; [unrolled: 1-line block ×26, first 2 shown]
	s_waitcnt vmcnt(9) lgkmcnt(2)
	v_mul_f64 v[88:89], v[24:25], v[48:49]
	s_waitcnt vmcnt(8)
	v_mul_f64 v[90:91], v[22:23], v[52:53]
	s_waitcnt vmcnt(7) lgkmcnt(0)
	v_mul_f64 v[92:93], v[36:37], v[56:57]
	s_waitcnt vmcnt(6)
	v_mul_f64 v[94:95], v[30:31], v[60:61]
	s_waitcnt vmcnt(5)
	;; [unrolled: 2-line block ×4, first 2 shown]
	v_mul_f64 v[100:101], v[32:33], v[72:73]
	v_mul_f64 v[104:105], v[24:25], v[50:51]
	;; [unrolled: 1-line block ×8, first 2 shown]
	s_waitcnt vmcnt(1)
	v_mul_f64 v[118:119], v[20:21], v[80:81]
	s_waitcnt vmcnt(0)
	v_mul_f64 v[120:121], v[38:39], v[84:85]
	v_mul_f64 v[122:123], v[20:21], v[82:83]
	;; [unrolled: 1-line block ×5, first 2 shown]
	v_fma_f64 v[28:29], v[8:9], v[50:51], v[88:89]
	v_fma_f64 v[38:39], v[2:3], v[54:55], v[90:91]
	;; [unrolled: 1-line block ×7, first 2 shown]
	v_fma_f64 v[30:31], v[8:9], v[48:49], -v[104:105]
	v_fma_f64 v[48:49], v[2:3], v[52:53], -v[106:107]
	;; [unrolled: 1-line block ×7, first 2 shown]
	v_fma_f64 v[12:13], v[0:1], v[82:83], v[118:119]
	v_fma_f64 v[2:3], v[18:19], v[86:87], v[120:121]
	v_fma_f64 v[14:15], v[0:1], v[80:81], -v[122:123]
	v_fma_f64 v[0:1], v[18:19], v[84:85], -v[124:125]
	v_fma_f64 v[26:27], v[10:11], v[78:79], v[102:103]
	v_fma_f64 v[10:11], v[10:11], v[76:77], -v[116:117]
	v_lshlrev_b64 v[50:51], 4, v[40:41]
	v_add_f64 v[18:19], v[38:39], v[20:21]
	v_add_f64 v[70:71], v[38:39], -v[20:21]
	v_add_f64 v[40:41], v[34:35], v[22:23]
	v_add_f64 v[42:43], v[32:33], v[24:25]
	v_add_f64 v[74:75], v[34:35], -v[22:23]
	v_add_f64 v[78:79], v[32:33], -v[24:25]
	;; [unrolled: 1-line block ×3, first 2 shown]
	v_add_f64 v[72:73], v[48:49], v[8:9]
	v_add_f64 v[56:57], v[36:37], -v[4:5]
	v_add_f64 v[58:59], v[16:17], -v[6:7]
	v_add_f64 v[76:77], v[36:37], v[4:5]
	v_add_f64 v[62:63], v[12:13], v[2:3]
	v_add_f64 v[66:67], v[12:13], -v[2:3]
	v_add_f64 v[64:65], v[14:15], -v[0:1]
	v_add_f64 v[68:69], v[14:15], v[0:1]
	v_add_f64 v[12:13], v[46:47], v[12:13]
	v_add_f64 v[14:15], v[44:45], v[14:15]
	v_add_f64 v[52:53], v[28:29], v[26:27]
	v_add_f64 v[60:61], v[30:31], -v[10:11]
	v_add_f64 v[82:83], v[28:29], -v[26:27]
	v_mul_f64 v[86:87], v[18:19], s[4:5]
	v_mul_f64 v[94:95], v[18:19], s[18:19]
	;; [unrolled: 1-line block ×17, first 2 shown]
	v_add_f64 v[12:13], v[38:39], v[12:13]
	v_add_f64 v[14:15], v[48:49], v[14:15]
	v_mul_f64 v[92:93], v[52:53], s[18:19]
	v_mul_f64 v[100:101], v[52:53], s[12:13]
	;; [unrolled: 1-line block ×13, first 2 shown]
	v_add_f64 v[80:81], v[16:17], v[6:7]
	v_add_f64 v[84:85], v[30:31], v[10:11]
	v_mul_f64 v[38:39], v[70:71], s[16:17]
	v_mul_f64 v[48:49], v[70:71], s[28:29]
	;; [unrolled: 1-line block ×5, first 2 shown]
	v_add_f64 v[12:13], v[34:35], v[12:13]
	v_add_f64 v[14:15], v[36:37], v[14:15]
	v_mul_f64 v[138:139], v[74:75], s[22:23]
	v_mul_f64 v[140:141], v[74:75], s[10:11]
	;; [unrolled: 1-line block ×15, first 2 shown]
	v_fma_f64 v[162:163], v[54:55], s[10:11], v[86:87]
	v_fma_f64 v[164:165], v[56:57], s[20:21], v[88:89]
	v_fma_f64 v[166:167], v[58:59], s[24:25], v[90:91]
	v_fma_f64 v[168:169], v[60:61], s[28:29], v[92:93]
	v_fma_f64 v[86:87], v[54:55], s[16:17], v[86:87]
	v_add_f64 v[12:13], v[32:33], v[12:13]
	v_add_f64 v[14:15], v[16:17], v[14:15]
	v_fma_f64 v[88:89], v[56:57], s[22:23], v[88:89]
	v_fma_f64 v[90:91], v[58:59], s[26:27], v[90:91]
	;; [unrolled: 1-line block ×46, first 2 shown]
	v_fma_f64 v[126:127], v[68:69], s[0:1], -v[126:127]
	v_fma_f64 v[204:205], v[68:69], s[8:9], v[128:129]
	v_fma_f64 v[128:129], v[68:69], s[8:9], -v[128:129]
	v_fma_f64 v[206:207], v[68:69], s[18:19], v[130:131]
	v_fma_f64 v[210:211], v[68:69], s[4:5], v[66:67]
	v_fma_f64 v[66:67], v[68:69], s[4:5], -v[66:67]
	v_fma_f64 v[208:209], v[68:69], s[12:13], v[132:133]
	v_fma_f64 v[132:133], v[68:69], s[12:13], -v[132:133]
	v_fma_f64 v[130:131], v[68:69], s[18:19], -v[130:131]
	v_add_f64 v[12:13], v[28:29], v[12:13]
	v_add_f64 v[14:15], v[30:31], v[14:15]
	v_fma_f64 v[34:35], v[72:73], s[4:5], v[38:39]
	v_fma_f64 v[36:37], v[72:73], s[4:5], -v[38:39]
	v_fma_f64 v[38:39], v[72:73], s[18:19], v[48:49]
	v_fma_f64 v[48:49], v[72:73], s[18:19], -v[48:49]
	;; [unrolled: 2-line block ×20, first 2 shown]
	v_add_f64 v[28:29], v[46:47], v[54:55]
	v_add_f64 v[30:31], v[44:45], v[64:65]
	;; [unrolled: 1-line block ×110, first 2 shown]
	v_add_co_u32 v44, vcc_lo, v236, v50
	v_add_co_ci_u32_e32 v45, vcc_lo, v237, v51, vcc_lo
	v_add_co_u32 v46, vcc_lo, 0x800, v44
	v_add_co_ci_u32_e32 v47, vcc_lo, 0, v45, vcc_lo
	;; [unrolled: 2-line block ×3, first 2 shown]
	global_store_dwordx4 v[44:45], v[32:35], off offset:432
	global_store_dwordx4 v[44:45], v[28:31], off offset:864
	;; [unrolled: 1-line block ×9, first 2 shown]
	global_store_dwordx4 v[44:45], v[0:3], off
	global_store_dwordx4 v[48:49], v[40:43], off offset:224
	s_endpgm
	.section	.rodata,"a",@progbits
	.p2align	6, 0x0
	.amdhsa_kernel fft_rtc_fwd_len297_factors_9_3_11_wgs_231_tpt_33_halfLds_dp_ip_CI_unitstride_sbrr_dirReg
		.amdhsa_group_segment_fixed_size 0
		.amdhsa_private_segment_fixed_size 0
		.amdhsa_kernarg_size 88
		.amdhsa_user_sgpr_count 6
		.amdhsa_user_sgpr_private_segment_buffer 1
		.amdhsa_user_sgpr_dispatch_ptr 0
		.amdhsa_user_sgpr_queue_ptr 0
		.amdhsa_user_sgpr_kernarg_segment_ptr 1
		.amdhsa_user_sgpr_dispatch_id 0
		.amdhsa_user_sgpr_flat_scratch_init 0
		.amdhsa_user_sgpr_private_segment_size 0
		.amdhsa_wavefront_size32 1
		.amdhsa_uses_dynamic_stack 0
		.amdhsa_system_sgpr_private_segment_wavefront_offset 0
		.amdhsa_system_sgpr_workgroup_id_x 1
		.amdhsa_system_sgpr_workgroup_id_y 0
		.amdhsa_system_sgpr_workgroup_id_z 0
		.amdhsa_system_sgpr_workgroup_info 0
		.amdhsa_system_vgpr_workitem_id 0
		.amdhsa_next_free_vgpr 238
		.amdhsa_next_free_sgpr 32
		.amdhsa_reserve_vcc 1
		.amdhsa_reserve_flat_scratch 0
		.amdhsa_float_round_mode_32 0
		.amdhsa_float_round_mode_16_64 0
		.amdhsa_float_denorm_mode_32 3
		.amdhsa_float_denorm_mode_16_64 3
		.amdhsa_dx10_clamp 1
		.amdhsa_ieee_mode 1
		.amdhsa_fp16_overflow 0
		.amdhsa_workgroup_processor_mode 1
		.amdhsa_memory_ordered 1
		.amdhsa_forward_progress 0
		.amdhsa_shared_vgpr_count 0
		.amdhsa_exception_fp_ieee_invalid_op 0
		.amdhsa_exception_fp_denorm_src 0
		.amdhsa_exception_fp_ieee_div_zero 0
		.amdhsa_exception_fp_ieee_overflow 0
		.amdhsa_exception_fp_ieee_underflow 0
		.amdhsa_exception_fp_ieee_inexact 0
		.amdhsa_exception_int_div_zero 0
	.end_amdhsa_kernel
	.text
.Lfunc_end0:
	.size	fft_rtc_fwd_len297_factors_9_3_11_wgs_231_tpt_33_halfLds_dp_ip_CI_unitstride_sbrr_dirReg, .Lfunc_end0-fft_rtc_fwd_len297_factors_9_3_11_wgs_231_tpt_33_halfLds_dp_ip_CI_unitstride_sbrr_dirReg
                                        ; -- End function
	.section	.AMDGPU.csdata,"",@progbits
; Kernel info:
; codeLenInByte = 6948
; NumSgprs: 34
; NumVgprs: 238
; ScratchSize: 0
; MemoryBound: 1
; FloatMode: 240
; IeeeMode: 1
; LDSByteSize: 0 bytes/workgroup (compile time only)
; SGPRBlocks: 4
; VGPRBlocks: 29
; NumSGPRsForWavesPerEU: 34
; NumVGPRsForWavesPerEU: 238
; Occupancy: 4
; WaveLimiterHint : 1
; COMPUTE_PGM_RSRC2:SCRATCH_EN: 0
; COMPUTE_PGM_RSRC2:USER_SGPR: 6
; COMPUTE_PGM_RSRC2:TRAP_HANDLER: 0
; COMPUTE_PGM_RSRC2:TGID_X_EN: 1
; COMPUTE_PGM_RSRC2:TGID_Y_EN: 0
; COMPUTE_PGM_RSRC2:TGID_Z_EN: 0
; COMPUTE_PGM_RSRC2:TIDIG_COMP_CNT: 0
	.text
	.p2alignl 6, 3214868480
	.fill 48, 4, 3214868480
	.type	__hip_cuid_c951f70668bb7cdf,@object ; @__hip_cuid_c951f70668bb7cdf
	.section	.bss,"aw",@nobits
	.globl	__hip_cuid_c951f70668bb7cdf
__hip_cuid_c951f70668bb7cdf:
	.byte	0                               ; 0x0
	.size	__hip_cuid_c951f70668bb7cdf, 1

	.ident	"AMD clang version 19.0.0git (https://github.com/RadeonOpenCompute/llvm-project roc-6.4.0 25133 c7fe45cf4b819c5991fe208aaa96edf142730f1d)"
	.section	".note.GNU-stack","",@progbits
	.addrsig
	.addrsig_sym __hip_cuid_c951f70668bb7cdf
	.amdgpu_metadata
---
amdhsa.kernels:
  - .args:
      - .actual_access:  read_only
        .address_space:  global
        .offset:         0
        .size:           8
        .value_kind:     global_buffer
      - .offset:         8
        .size:           8
        .value_kind:     by_value
      - .actual_access:  read_only
        .address_space:  global
        .offset:         16
        .size:           8
        .value_kind:     global_buffer
      - .actual_access:  read_only
        .address_space:  global
        .offset:         24
        .size:           8
        .value_kind:     global_buffer
      - .offset:         32
        .size:           8
        .value_kind:     by_value
      - .actual_access:  read_only
        .address_space:  global
        .offset:         40
        .size:           8
        .value_kind:     global_buffer
      - .actual_access:  read_only
        .address_space:  global
        .offset:         48
        .size:           8
        .value_kind:     global_buffer
      - .offset:         56
        .size:           4
        .value_kind:     by_value
      - .actual_access:  read_only
        .address_space:  global
        .offset:         64
        .size:           8
        .value_kind:     global_buffer
      - .actual_access:  read_only
        .address_space:  global
        .offset:         72
        .size:           8
        .value_kind:     global_buffer
      - .address_space:  global
        .offset:         80
        .size:           8
        .value_kind:     global_buffer
    .group_segment_fixed_size: 0
    .kernarg_segment_align: 8
    .kernarg_segment_size: 88
    .language:       OpenCL C
    .language_version:
      - 2
      - 0
    .max_flat_workgroup_size: 231
    .name:           fft_rtc_fwd_len297_factors_9_3_11_wgs_231_tpt_33_halfLds_dp_ip_CI_unitstride_sbrr_dirReg
    .private_segment_fixed_size: 0
    .sgpr_count:     34
    .sgpr_spill_count: 0
    .symbol:         fft_rtc_fwd_len297_factors_9_3_11_wgs_231_tpt_33_halfLds_dp_ip_CI_unitstride_sbrr_dirReg.kd
    .uniform_work_group_size: 1
    .uses_dynamic_stack: false
    .vgpr_count:     238
    .vgpr_spill_count: 0
    .wavefront_size: 32
    .workgroup_processor_mode: 1
amdhsa.target:   amdgcn-amd-amdhsa--gfx1030
amdhsa.version:
  - 1
  - 2
...

	.end_amdgpu_metadata
